;; amdgpu-corpus repo=ROCm/rocFFT kind=compiled arch=gfx1030 opt=O3
	.text
	.amdgcn_target "amdgcn-amd-amdhsa--gfx1030"
	.amdhsa_code_object_version 6
	.protected	fft_rtc_back_len338_factors_13_2_13_wgs_52_tpt_26_halfLds_sp_ip_CI_unitstride_sbrr_dirReg ; -- Begin function fft_rtc_back_len338_factors_13_2_13_wgs_52_tpt_26_halfLds_sp_ip_CI_unitstride_sbrr_dirReg
	.globl	fft_rtc_back_len338_factors_13_2_13_wgs_52_tpt_26_halfLds_sp_ip_CI_unitstride_sbrr_dirReg
	.p2align	8
	.type	fft_rtc_back_len338_factors_13_2_13_wgs_52_tpt_26_halfLds_sp_ip_CI_unitstride_sbrr_dirReg,@function
fft_rtc_back_len338_factors_13_2_13_wgs_52_tpt_26_halfLds_sp_ip_CI_unitstride_sbrr_dirReg: ; @fft_rtc_back_len338_factors_13_2_13_wgs_52_tpt_26_halfLds_sp_ip_CI_unitstride_sbrr_dirReg
; %bb.0:
	s_clause 0x2
	s_load_dwordx4 s[8:11], s[4:5], 0x0
	s_load_dwordx2 s[2:3], s[4:5], 0x50
	s_load_dwordx2 s[12:13], s[4:5], 0x18
	v_mul_u32_u24_e32 v1, 0x9d9, v0
	v_mov_b32_e32 v3, 0
	v_lshrrev_b32_e32 v19, 16, v1
	v_mov_b32_e32 v1, 0
	v_mov_b32_e32 v6, v3
	v_mov_b32_e32 v2, 0
	v_lshl_add_u32 v5, s6, 1, v19
	s_waitcnt lgkmcnt(0)
	v_cmp_lt_u64_e64 s0, s[10:11], 2
	s_and_b32 vcc_lo, exec_lo, s0
	s_cbranch_vccnz .LBB0_8
; %bb.1:
	s_load_dwordx2 s[0:1], s[4:5], 0x10
	v_mov_b32_e32 v1, 0
	s_add_u32 s6, s12, 8
	v_mov_b32_e32 v2, 0
	s_addc_u32 s7, s13, 0
	s_mov_b64 s[16:17], 1
	s_waitcnt lgkmcnt(0)
	s_add_u32 s14, s0, 8
	s_addc_u32 s15, s1, 0
.LBB0_2:                                ; =>This Inner Loop Header: Depth=1
	s_load_dwordx2 s[18:19], s[14:15], 0x0
                                        ; implicit-def: $vgpr7_vgpr8
	s_mov_b32 s0, exec_lo
	s_waitcnt lgkmcnt(0)
	v_or_b32_e32 v4, s19, v6
	v_cmpx_ne_u64_e32 0, v[3:4]
	s_xor_b32 s1, exec_lo, s0
	s_cbranch_execz .LBB0_4
; %bb.3:                                ;   in Loop: Header=BB0_2 Depth=1
	v_cvt_f32_u32_e32 v4, s18
	v_cvt_f32_u32_e32 v7, s19
	s_sub_u32 s0, 0, s18
	s_subb_u32 s20, 0, s19
	v_fmac_f32_e32 v4, 0x4f800000, v7
	v_rcp_f32_e32 v4, v4
	v_mul_f32_e32 v4, 0x5f7ffffc, v4
	v_mul_f32_e32 v7, 0x2f800000, v4
	v_trunc_f32_e32 v7, v7
	v_fmac_f32_e32 v4, 0xcf800000, v7
	v_cvt_u32_f32_e32 v7, v7
	v_cvt_u32_f32_e32 v4, v4
	v_mul_lo_u32 v8, s0, v7
	v_mul_hi_u32 v9, s0, v4
	v_mul_lo_u32 v10, s20, v4
	v_add_nc_u32_e32 v8, v9, v8
	v_mul_lo_u32 v9, s0, v4
	v_add_nc_u32_e32 v8, v8, v10
	v_mul_hi_u32 v10, v4, v9
	v_mul_lo_u32 v11, v4, v8
	v_mul_hi_u32 v12, v4, v8
	v_mul_hi_u32 v13, v7, v9
	v_mul_lo_u32 v9, v7, v9
	v_mul_hi_u32 v14, v7, v8
	v_mul_lo_u32 v8, v7, v8
	v_add_co_u32 v10, vcc_lo, v10, v11
	v_add_co_ci_u32_e32 v11, vcc_lo, 0, v12, vcc_lo
	v_add_co_u32 v9, vcc_lo, v10, v9
	v_add_co_ci_u32_e32 v9, vcc_lo, v11, v13, vcc_lo
	v_add_co_ci_u32_e32 v10, vcc_lo, 0, v14, vcc_lo
	v_add_co_u32 v8, vcc_lo, v9, v8
	v_add_co_ci_u32_e32 v9, vcc_lo, 0, v10, vcc_lo
	v_add_co_u32 v4, vcc_lo, v4, v8
	v_add_co_ci_u32_e32 v7, vcc_lo, v7, v9, vcc_lo
	v_mul_hi_u32 v8, s0, v4
	v_mul_lo_u32 v10, s20, v4
	v_mul_lo_u32 v9, s0, v7
	v_add_nc_u32_e32 v8, v8, v9
	v_mul_lo_u32 v9, s0, v4
	v_add_nc_u32_e32 v8, v8, v10
	v_mul_hi_u32 v10, v4, v9
	v_mul_lo_u32 v11, v4, v8
	v_mul_hi_u32 v12, v4, v8
	v_mul_hi_u32 v13, v7, v9
	v_mul_lo_u32 v9, v7, v9
	v_mul_hi_u32 v14, v7, v8
	v_mul_lo_u32 v8, v7, v8
	v_add_co_u32 v10, vcc_lo, v10, v11
	v_add_co_ci_u32_e32 v11, vcc_lo, 0, v12, vcc_lo
	v_add_co_u32 v9, vcc_lo, v10, v9
	v_add_co_ci_u32_e32 v9, vcc_lo, v11, v13, vcc_lo
	v_add_co_ci_u32_e32 v10, vcc_lo, 0, v14, vcc_lo
	v_add_co_u32 v8, vcc_lo, v9, v8
	v_add_co_ci_u32_e32 v9, vcc_lo, 0, v10, vcc_lo
	v_add_co_u32 v4, vcc_lo, v4, v8
	v_add_co_ci_u32_e32 v11, vcc_lo, v7, v9, vcc_lo
	v_mul_hi_u32 v13, v5, v4
	v_mad_u64_u32 v[9:10], null, v6, v4, 0
	v_mad_u64_u32 v[7:8], null, v5, v11, 0
	;; [unrolled: 1-line block ×3, first 2 shown]
	v_add_co_u32 v4, vcc_lo, v13, v7
	v_add_co_ci_u32_e32 v7, vcc_lo, 0, v8, vcc_lo
	v_add_co_u32 v4, vcc_lo, v4, v9
	v_add_co_ci_u32_e32 v4, vcc_lo, v7, v10, vcc_lo
	v_add_co_ci_u32_e32 v7, vcc_lo, 0, v12, vcc_lo
	v_add_co_u32 v4, vcc_lo, v4, v11
	v_add_co_ci_u32_e32 v9, vcc_lo, 0, v7, vcc_lo
	v_mul_lo_u32 v10, s19, v4
	v_mad_u64_u32 v[7:8], null, s18, v4, 0
	v_mul_lo_u32 v11, s18, v9
	v_sub_co_u32 v7, vcc_lo, v5, v7
	v_add3_u32 v8, v8, v11, v10
	v_sub_nc_u32_e32 v10, v6, v8
	v_subrev_co_ci_u32_e64 v10, s0, s19, v10, vcc_lo
	v_add_co_u32 v11, s0, v4, 2
	v_add_co_ci_u32_e64 v12, s0, 0, v9, s0
	v_sub_co_u32 v13, s0, v7, s18
	v_sub_co_ci_u32_e32 v8, vcc_lo, v6, v8, vcc_lo
	v_subrev_co_ci_u32_e64 v10, s0, 0, v10, s0
	v_cmp_le_u32_e32 vcc_lo, s18, v13
	v_cmp_eq_u32_e64 s0, s19, v8
	v_cndmask_b32_e64 v13, 0, -1, vcc_lo
	v_cmp_le_u32_e32 vcc_lo, s19, v10
	v_cndmask_b32_e64 v14, 0, -1, vcc_lo
	v_cmp_le_u32_e32 vcc_lo, s18, v7
	;; [unrolled: 2-line block ×3, first 2 shown]
	v_cndmask_b32_e64 v15, 0, -1, vcc_lo
	v_cmp_eq_u32_e32 vcc_lo, s19, v10
	v_cndmask_b32_e64 v7, v15, v7, s0
	v_cndmask_b32_e32 v10, v14, v13, vcc_lo
	v_add_co_u32 v13, vcc_lo, v4, 1
	v_add_co_ci_u32_e32 v14, vcc_lo, 0, v9, vcc_lo
	v_cmp_ne_u32_e32 vcc_lo, 0, v10
	v_cndmask_b32_e32 v8, v14, v12, vcc_lo
	v_cndmask_b32_e32 v10, v13, v11, vcc_lo
	v_cmp_ne_u32_e32 vcc_lo, 0, v7
	v_cndmask_b32_e32 v8, v9, v8, vcc_lo
	v_cndmask_b32_e32 v7, v4, v10, vcc_lo
.LBB0_4:                                ;   in Loop: Header=BB0_2 Depth=1
	s_andn2_saveexec_b32 s0, s1
	s_cbranch_execz .LBB0_6
; %bb.5:                                ;   in Loop: Header=BB0_2 Depth=1
	v_cvt_f32_u32_e32 v4, s18
	s_sub_i32 s1, 0, s18
	v_rcp_iflag_f32_e32 v4, v4
	v_mul_f32_e32 v4, 0x4f7ffffe, v4
	v_cvt_u32_f32_e32 v4, v4
	v_mul_lo_u32 v7, s1, v4
	v_mul_hi_u32 v7, v4, v7
	v_add_nc_u32_e32 v4, v4, v7
	v_mul_hi_u32 v4, v5, v4
	v_mul_lo_u32 v7, v4, s18
	v_add_nc_u32_e32 v8, 1, v4
	v_sub_nc_u32_e32 v7, v5, v7
	v_subrev_nc_u32_e32 v9, s18, v7
	v_cmp_le_u32_e32 vcc_lo, s18, v7
	v_cndmask_b32_e32 v7, v7, v9, vcc_lo
	v_cndmask_b32_e32 v4, v4, v8, vcc_lo
	v_cmp_le_u32_e32 vcc_lo, s18, v7
	v_add_nc_u32_e32 v8, 1, v4
	v_cndmask_b32_e32 v7, v4, v8, vcc_lo
	v_mov_b32_e32 v8, v3
.LBB0_6:                                ;   in Loop: Header=BB0_2 Depth=1
	s_or_b32 exec_lo, exec_lo, s0
	s_load_dwordx2 s[0:1], s[6:7], 0x0
	v_mul_lo_u32 v4, v8, s18
	v_mul_lo_u32 v11, v7, s19
	v_mad_u64_u32 v[9:10], null, v7, s18, 0
	s_add_u32 s16, s16, 1
	s_addc_u32 s17, s17, 0
	s_add_u32 s6, s6, 8
	s_addc_u32 s7, s7, 0
	;; [unrolled: 2-line block ×3, first 2 shown]
	v_add3_u32 v4, v10, v11, v4
	v_sub_co_u32 v5, vcc_lo, v5, v9
	v_sub_co_ci_u32_e32 v4, vcc_lo, v6, v4, vcc_lo
	s_waitcnt lgkmcnt(0)
	v_mul_lo_u32 v6, s1, v5
	v_mul_lo_u32 v4, s0, v4
	v_mad_u64_u32 v[1:2], null, s0, v5, v[1:2]
	v_cmp_ge_u64_e64 s0, s[16:17], s[10:11]
	s_and_b32 vcc_lo, exec_lo, s0
	v_add3_u32 v2, v6, v2, v4
	s_cbranch_vccnz .LBB0_9
; %bb.7:                                ;   in Loop: Header=BB0_2 Depth=1
	v_mov_b32_e32 v5, v7
	v_mov_b32_e32 v6, v8
	s_branch .LBB0_2
.LBB0_8:
	v_mov_b32_e32 v8, v6
	v_mov_b32_e32 v7, v5
.LBB0_9:
	s_lshl_b64 s[0:1], s[10:11], 3
	v_mul_hi_u32 v3, 0x9d89d8a, v0
	s_add_u32 s0, s12, s0
	s_addc_u32 s1, s13, s1
                                        ; implicit-def: $vgpr41
                                        ; implicit-def: $vgpr39
                                        ; implicit-def: $vgpr26
                                        ; implicit-def: $vgpr16
                                        ; implicit-def: $vgpr12
                                        ; implicit-def: $vgpr14
                                        ; implicit-def: $vgpr33
                                        ; implicit-def: $vgpr35
                                        ; implicit-def: $vgpr37
                                        ; implicit-def: $vgpr18
                                        ; implicit-def: $vgpr10
	s_load_dwordx2 s[0:1], s[0:1], 0x0
	s_load_dwordx2 s[4:5], s[4:5], 0x20
	s_waitcnt lgkmcnt(0)
	v_mul_lo_u32 v4, s0, v8
	v_mul_lo_u32 v9, s1, v7
	v_mad_u64_u32 v[5:6], null, s0, v7, v[1:2]
	v_mul_u32_u24_e32 v1, 26, v3
	v_mov_b32_e32 v2, 0
	v_mov_b32_e32 v3, 0
	v_cmp_gt_u64_e32 vcc_lo, s[4:5], v[7:8]
                                        ; implicit-def: $vgpr8
	v_add3_u32 v6, v9, v6, v4
	v_sub_nc_u32_e32 v4, v0, v1
	v_mov_b32_e32 v31, v3
	v_mov_b32_e32 v30, v2
	v_lshlrev_b64 v[0:1], 3, v[5:6]
	s_and_saveexec_b32 s1, vcc_lo
	s_cbranch_execz .LBB0_11
; %bb.10:
	v_mov_b32_e32 v5, 0
	v_add_co_u32 v6, s0, s2, v0
	v_add_co_ci_u32_e64 v7, s0, s3, v1, s0
	v_lshlrev_b64 v[2:3], 3, v[4:5]
	v_add_co_u32 v2, s0, v6, v2
	v_add_co_ci_u32_e64 v3, s0, v7, v3, s0
	s_clause 0x3
	global_load_dwordx2 v[30:31], v[2:3], off
	global_load_dwordx2 v[40:41], v[2:3], off offset:208
	global_load_dwordx2 v[38:39], v[2:3], off offset:416
	global_load_dwordx2 v[25:26], v[2:3], off offset:624
	v_add_co_u32 v20, s0, 0x800, v2
	v_add_co_ci_u32_e64 v21, s0, 0, v3, s0
	s_clause 0x8
	global_load_dwordx2 v[15:16], v[2:3], off offset:832
	global_load_dwordx2 v[11:12], v[2:3], off offset:1040
	;; [unrolled: 1-line block ×9, first 2 shown]
	v_mov_b32_e32 v2, v4
	v_mov_b32_e32 v3, v5
.LBB0_11:
	s_or_b32 exec_lo, exec_lo, s1
	s_waitcnt vmcnt(11)
	v_add_f32_e32 v5, v40, v30
	v_and_b32_e32 v6, 1, v19
	s_waitcnt vmcnt(0)
	v_sub_f32_e32 v20, v41, v35
	v_add_f32_e32 v19, v40, v34
	v_sub_f32_e32 v22, v39, v37
	v_add_f32_e32 v5, v38, v5
	v_cmp_eq_u32_e64 s0, 1, v6
	v_mul_f32_e32 v6, 0xbeedf032, v20
	v_add_f32_e32 v21, v38, v36
	v_mul_f32_e32 v23, 0xbf52af12, v20
	v_add_f32_e32 v5, v25, v5
	v_mul_f32_e32 v24, 0xbf7e222b, v20
	v_mul_f32_e32 v27, 0xbf6f5d39, v20
	;; [unrolled: 1-line block ×4, first 2 shown]
	v_add_f32_e32 v5, v15, v5
	v_mul_f32_e32 v29, 0xbf52af12, v22
	v_fmamk_f32 v45, v19, 0x3f62ad3f, v6
	v_fma_f32 v6, 0x3f62ad3f, v19, -v6
	v_mul_f32_e32 v42, 0xbf6f5d39, v22
	v_add_f32_e32 v5, v11, v5
	v_fmamk_f32 v46, v19, 0x3f116cb1, v23
	v_fma_f32 v23, 0x3f116cb1, v19, -v23
	v_fmamk_f32 v47, v19, 0x3df6dbef, v24
	v_fma_f32 v24, 0x3df6dbef, v19, -v24
	v_add_f32_e32 v5, v7, v5
	v_fmamk_f32 v48, v19, 0xbeb58ec6, v27
	v_fma_f32 v27, 0xbeb58ec6, v19, -v27
	v_fmamk_f32 v49, v19, 0xbf3f9e67, v28
	v_fma_f32 v28, 0xbf3f9e67, v19, -v28
	;; [unrolled: 5-line block ×3, first 2 shown]
	v_add_f32_e32 v5, v13, v5
	v_add_f32_e32 v6, v6, v30
	v_mul_f32_e32 v44, 0xbe750f2a, v22
	v_fmamk_f32 v51, v21, 0xbeb58ec6, v42
	v_add_f32_e32 v45, v45, v30
	v_add_f32_e32 v5, v17, v5
	;; [unrolled: 1-line block ×15, first 2 shown]
	v_mul_f32_e32 v29, 0x3f29c268, v22
	v_add_f32_e32 v30, v34, v5
	v_fma_f32 v5, 0xbeb58ec6, v21, -v42
	v_add_f32_e32 v20, v20, v45
	v_add_f32_e32 v42, v51, v46
	v_fmamk_f32 v45, v21, 0xbf788fa5, v44
	v_mul_f32_e32 v46, 0x3f7e222b, v22
	v_add_f32_e32 v5, v5, v23
	v_fma_f32 v23, 0xbf788fa5, v21, -v44
	v_fmamk_f32 v44, v21, 0xbf3f9e67, v29
	v_fma_f32 v29, 0xbf3f9e67, v21, -v29
	v_mul_f32_e32 v22, 0x3eedf032, v22
	v_add_f32_e32 v45, v45, v47
	v_add_f32_e32 v23, v23, v24
	;; [unrolled: 1-line block ×4, first 2 shown]
	v_sub_f32_e32 v29, v26, v33
	v_fmamk_f32 v44, v21, 0x3df6dbef, v46
	v_fma_f32 v46, 0x3df6dbef, v21, -v46
	v_add_f32_e32 v47, v25, v32
	v_cndmask_b32_e64 v43, 0, 0x152, s0
	v_mul_f32_e32 v48, 0xbf7e222b, v29
	v_add_f32_e32 v44, v44, v49
	v_fmamk_f32 v49, v21, 0x3f62ad3f, v22
	v_fma_f32 v21, 0x3f62ad3f, v21, -v22
	v_add_f32_e32 v22, v46, v28
	v_fmamk_f32 v28, v47, 0x3df6dbef, v48
	v_mul_f32_e32 v46, 0xbe750f2a, v29
	v_add_f32_e32 v49, v49, v50
	v_add_f32_e32 v19, v21, v19
	v_fma_f32 v21, 0x3df6dbef, v47, -v48
	v_add_f32_e32 v20, v28, v20
	v_fmamk_f32 v28, v47, 0xbf788fa5, v46
	v_mul_f32_e32 v48, 0x3f6f5d39, v29
	v_fma_f32 v46, 0xbf788fa5, v47, -v46
	v_add_f32_e32 v6, v21, v6
	v_mul_f32_e32 v21, 0x3eedf032, v29
	v_add_f32_e32 v28, v28, v42
	v_fmamk_f32 v42, v47, 0xbeb58ec6, v48
	v_add_f32_e32 v5, v46, v5
	v_fma_f32 v46, 0xbeb58ec6, v47, -v48
	v_fmamk_f32 v48, v47, 0x3f62ad3f, v21
	v_fma_f32 v21, 0x3f62ad3f, v47, -v21
	v_add_f32_e32 v42, v42, v45
	v_mul_f32_e32 v45, 0xbf52af12, v29
	v_add_f32_e32 v23, v46, v23
	v_add_f32_e32 v24, v48, v24
	;; [unrolled: 1-line block ×3, first 2 shown]
	v_sub_f32_e32 v27, v16, v18
	v_fmamk_f32 v46, v47, 0x3f116cb1, v45
	v_mul_f32_e32 v29, 0xbf29c268, v29
	v_fma_f32 v45, 0x3f116cb1, v47, -v45
	v_add_f32_e32 v48, v15, v17
	v_mul_f32_e32 v50, 0xbf6f5d39, v27
	v_add_f32_e32 v44, v46, v44
	v_fmamk_f32 v46, v47, 0xbf3f9e67, v29
	v_add_f32_e32 v22, v45, v22
	v_fma_f32 v29, 0xbf3f9e67, v47, -v29
	v_fmamk_f32 v45, v48, 0xbeb58ec6, v50
	v_mul_f32_e32 v47, 0x3f29c268, v27
	v_add_f32_e32 v46, v46, v49
	v_fma_f32 v49, 0xbeb58ec6, v48, -v50
	v_add_f32_e32 v19, v29, v19
	v_add_f32_e32 v20, v45, v20
	v_fmamk_f32 v29, v48, 0xbf3f9e67, v47
	v_mul_f32_e32 v45, 0x3eedf032, v27
	v_add_f32_e32 v6, v49, v6
	v_fma_f32 v47, 0xbf3f9e67, v48, -v47
	v_mul_f32_e32 v49, 0xbf7e222b, v27
	v_add_f32_e32 v28, v29, v28
	v_fmamk_f32 v29, v48, 0x3f62ad3f, v45
	v_fma_f32 v45, 0x3f62ad3f, v48, -v45
	v_add_f32_e32 v5, v47, v5
	v_fmamk_f32 v47, v48, 0x3df6dbef, v49
	v_fma_f32 v49, 0x3df6dbef, v48, -v49
	v_add_f32_e32 v29, v29, v42
	v_add_f32_e32 v23, v45, v23
	v_mul_f32_e32 v42, 0x3e750f2a, v27
	v_sub_f32_e32 v45, v12, v14
	v_add_f32_e32 v24, v47, v24
	v_add_f32_e32 v21, v49, v21
	v_mul_f32_e32 v27, 0x3f52af12, v27
	v_fmamk_f32 v47, v48, 0xbf788fa5, v42
	v_fma_f32 v42, 0xbf788fa5, v48, -v42
	v_add_f32_e32 v49, v11, v13
	v_mul_f32_e32 v50, 0xbf29c268, v45
	v_fmamk_f32 v51, v48, 0x3f116cb1, v27
	v_add_f32_e32 v44, v47, v44
	v_add_f32_e32 v22, v42, v22
	v_fma_f32 v27, 0x3f116cb1, v48, -v27
	v_fmamk_f32 v42, v49, 0xbf3f9e67, v50
	v_mul_f32_e32 v47, 0x3f7e222b, v45
	v_fma_f32 v48, 0xbf3f9e67, v49, -v50
	v_add_f32_e32 v46, v51, v46
	v_add_f32_e32 v19, v27, v19
	;; [unrolled: 1-line block ×3, first 2 shown]
	v_mul_f32_e32 v27, 0xbf52af12, v45
	v_fmamk_f32 v42, v49, 0x3df6dbef, v47
	v_add_f32_e32 v6, v48, v6
	v_fma_f32 v47, 0x3df6dbef, v49, -v47
	v_mul_f32_e32 v48, 0x3e750f2a, v45
	v_fmamk_f32 v50, v49, 0x3f116cb1, v27
	v_add_f32_e32 v28, v42, v28
	v_fma_f32 v27, 0x3f116cb1, v49, -v27
	v_add_f32_e32 v42, v47, v5
	v_fmamk_f32 v5, v49, 0xbf788fa5, v48
	v_fma_f32 v47, 0xbf788fa5, v49, -v48
	v_add_f32_e32 v29, v50, v29
	v_add_f32_e32 v23, v27, v23
	v_mul_f32_e32 v27, 0x3eedf032, v45
	v_add_f32_e32 v24, v5, v24
	v_mul_f32_e32 v5, 0xbf6f5d39, v45
	v_sub_f32_e32 v45, v8, v10
	v_add_f32_e32 v21, v47, v21
	v_fmamk_f32 v47, v49, 0x3f62ad3f, v27
	v_fma_f32 v27, 0x3f62ad3f, v49, -v27
	v_fmamk_f32 v48, v49, 0xbeb58ec6, v5
	v_add_f32_e32 v50, v7, v9
	v_mul_f32_e32 v51, 0xbe750f2a, v45
	v_add_f32_e32 v44, v47, v44
	v_add_f32_e32 v22, v27, v22
	;; [unrolled: 1-line block ×3, first 2 shown]
	v_mul_f32_e32 v47, 0x3eedf032, v45
	v_fmamk_f32 v46, v50, 0xbf788fa5, v51
	v_fma_f32 v5, 0xbeb58ec6, v49, -v5
	v_fma_f32 v48, 0xbf788fa5, v50, -v51
	v_mul_f32_e32 v49, 0xbf29c268, v45
	v_cmp_gt_u32_e64 s0, 13, v4
	v_add_f32_e32 v20, v46, v20
	v_fmamk_f32 v46, v50, 0x3f62ad3f, v47
	v_add_f32_e32 v19, v5, v19
	v_add_f32_e32 v5, v48, v6
	v_fma_f32 v6, 0x3f62ad3f, v50, -v47
	v_fmamk_f32 v47, v50, 0xbf3f9e67, v49
	v_mul_f32_e32 v48, 0x3f52af12, v45
	v_add_f32_e32 v28, v46, v28
	v_fma_f32 v46, 0xbf3f9e67, v50, -v49
	v_add_f32_e32 v6, v6, v42
	v_add_f32_e32 v29, v47, v29
	v_fma_f32 v47, 0x3f116cb1, v50, -v48
	v_fmamk_f32 v42, v50, 0x3f116cb1, v48
	v_add_f32_e32 v23, v46, v23
	v_mul_f32_e32 v46, 0xbf6f5d39, v45
	v_mul_f32_e32 v45, 0x3f7e222b, v45
	v_add_f32_e32 v21, v47, v21
	v_lshl_add_u32 v47, v43, 2, 0
	v_add_f32_e32 v24, v42, v24
	v_fmamk_f32 v48, v50, 0xbeb58ec6, v46
	v_fmamk_f32 v49, v50, 0x3df6dbef, v45
	v_fma_f32 v45, 0x3df6dbef, v50, -v45
	v_fma_f32 v46, 0xbeb58ec6, v50, -v46
	v_mad_u32_u24 v42, v4, 52, v47
	v_add_f32_e32 v44, v48, v44
	v_add_f32_e32 v27, v49, v27
	;; [unrolled: 1-line block ×4, first 2 shown]
	ds_write2_b32 v42, v30, v20 offset1:1
	ds_write2_b32 v42, v28, v29 offset0:2 offset1:3
	ds_write2_b32 v42, v24, v44 offset0:4 offset1:5
	;; [unrolled: 1-line block ×5, first 2 shown]
	ds_write_b32 v42, v5 offset:48
	v_mad_i32_i24 v44, 0xffffffd0, v4, v42
	s_waitcnt lgkmcnt(0)
	s_barrier
	buffer_gl0_inv
	v_lshl_add_u32 v45, v4, 2, v47
	v_add_nc_u32_e32 v48, 0x200, v44
	ds_read2_b32 v[23:24], v44 offset0:130 offset1:169
	ds_read2_b32 v[27:28], v44 offset0:26 offset1:52
	;; [unrolled: 1-line block ×5, first 2 shown]
	ds_read_b32 v47, v45
	ds_read_b32 v46, v44 offset:1196
	s_and_saveexec_b32 s1, s0
	s_cbranch_execz .LBB0_13
; %bb.12:
	ds_read2_b32 v[5:6], v48 offset0:28 offset1:197
.LBB0_13:
	s_or_b32 exec_lo, exec_lo, s1
	v_add_f32_e32 v49, v41, v31
	v_sub_f32_e32 v36, v38, v36
	v_sub_f32_e32 v34, v40, v34
	v_add_f32_e32 v40, v41, v35
	v_add_f32_e32 v41, v39, v37
	;; [unrolled: 1-line block ×3, first 2 shown]
	v_mul_f32_e32 v54, 0xbf6f5d39, v36
	v_mul_f32_e32 v49, 0xbf52af12, v34
	;; [unrolled: 1-line block ×4, first 2 shown]
	v_add_f32_e32 v38, v26, v38
	v_mul_f32_e32 v51, 0xbf6f5d39, v34
	v_fma_f32 v58, 0x3f116cb1, v40, -v49
	v_fmac_f32_e32 v49, 0x3f116cb1, v40
	v_mul_f32_e32 v52, 0xbf29c268, v34
	v_add_f32_e32 v38, v16, v38
	v_mul_f32_e32 v34, 0xbe750f2a, v34
	v_mul_f32_e32 v53, 0xbf52af12, v36
	v_fma_f32 v57, 0x3f62ad3f, v40, -v39
	v_fma_f32 v63, 0xbeb58ec6, v41, -v54
	v_add_f32_e32 v38, v12, v38
	v_fmac_f32_e32 v54, 0xbeb58ec6, v41
	v_add_f32_e32 v49, v49, v31
	v_mul_f32_e32 v55, 0xbe750f2a, v36
	v_fmac_f32_e32 v39, 0x3f62ad3f, v40
	v_add_f32_e32 v38, v8, v38
	v_fma_f32 v59, 0x3df6dbef, v40, -v50
	v_fmac_f32_e32 v50, 0x3df6dbef, v40
	v_fma_f32 v60, 0xbeb58ec6, v40, -v51
	v_fmac_f32_e32 v51, 0xbeb58ec6, v40
	v_add_f32_e32 v38, v10, v38
	v_fma_f32 v61, 0xbf3f9e67, v40, -v52
	v_fmac_f32_e32 v52, 0xbf3f9e67, v40
	v_fma_f32 v62, 0xbf788fa5, v40, -v34
	v_fmac_f32_e32 v34, 0xbf788fa5, v40
	v_add_f32_e32 v38, v14, v38
	v_fma_f32 v40, 0x3f116cb1, v41, -v53
	v_add_f32_e32 v57, v57, v31
	v_add_f32_e32 v49, v54, v49
	v_mul_f32_e32 v54, 0x3f7e222b, v36
	v_add_f32_e32 v38, v18, v38
	v_sub_f32_e32 v25, v25, v32
	v_mul_f32_e32 v56, 0x3f29c268, v36
	v_fmac_f32_e32 v53, 0x3f116cb1, v41
	v_add_f32_e32 v39, v39, v31
	v_add_f32_e32 v38, v33, v38
	;; [unrolled: 1-line block ×13, first 2 shown]
	v_fma_f32 v40, 0xbf788fa5, v41, -v55
	v_fmac_f32_e32 v55, 0xbf788fa5, v41
	v_fma_f32 v32, 0x3df6dbef, v41, -v54
	v_mul_f32_e32 v36, 0x3eedf032, v36
	v_fmac_f32_e32 v54, 0x3df6dbef, v41
	v_add_f32_e32 v26, v26, v33
	v_mul_f32_e32 v33, 0xbf7e222b, v25
	v_add_f32_e32 v39, v53, v39
	v_fma_f32 v53, 0xbf3f9e67, v41, -v56
	v_fmac_f32_e32 v56, 0xbf3f9e67, v41
	v_add_f32_e32 v50, v55, v50
	v_fma_f32 v55, 0x3f62ad3f, v41, -v36
	v_fmac_f32_e32 v36, 0x3f62ad3f, v41
	v_add_f32_e32 v41, v54, v52
	v_fma_f32 v52, 0x3df6dbef, v26, -v33
	v_mul_f32_e32 v54, 0xbe750f2a, v25
	v_add_f32_e32 v35, v35, v37
	v_add_f32_e32 v37, v63, v58
	;; [unrolled: 1-line block ×4, first 2 shown]
	v_fma_f32 v36, 0xbf788fa5, v26, -v54
	v_mul_f32_e32 v52, 0x3f6f5d39, v25
	v_add_f32_e32 v40, v40, v59
	v_fmac_f32_e32 v33, 0x3df6dbef, v26
	v_sub_f32_e32 v15, v15, v17
	v_add_f32_e32 v36, v36, v37
	v_fma_f32 v37, 0xbeb58ec6, v26, -v52
	v_add_f32_e32 v32, v32, v61
	v_fmac_f32_e32 v54, 0xbf788fa5, v26
	v_add_f32_e32 v33, v33, v39
	v_mul_f32_e32 v39, 0x3eedf032, v25
	v_add_f32_e32 v37, v37, v40
	v_mul_f32_e32 v40, 0xbf52af12, v25
	v_mul_f32_e32 v25, 0xbf29c268, v25
	v_add_f32_e32 v16, v16, v18
	v_mul_f32_e32 v18, 0xbf6f5d39, v15
	v_add_f32_e32 v38, v55, v38
	v_fma_f32 v17, 0x3f116cb1, v26, -v40
	v_fmac_f32_e32 v40, 0x3f116cb1, v26
	v_add_f32_e32 v49, v54, v49
	v_fmac_f32_e32 v52, 0xbeb58ec6, v26
	v_fma_f32 v54, 0x3f62ad3f, v26, -v39
	v_fmac_f32_e32 v39, 0x3f62ad3f, v26
	v_add_f32_e32 v17, v17, v32
	v_fma_f32 v32, 0xbf3f9e67, v26, -v25
	v_fmac_f32_e32 v25, 0xbf3f9e67, v26
	v_add_f32_e32 v26, v40, v41
	v_fma_f32 v40, 0xbeb58ec6, v16, -v18
	v_mul_f32_e32 v41, 0x3f29c268, v15
	v_add_f32_e32 v32, v32, v38
	v_add_f32_e32 v25, v25, v31
	v_mul_f32_e32 v38, 0x3eedf032, v15
	v_add_f32_e32 v31, v40, v34
	v_fma_f32 v34, 0xbf3f9e67, v16, -v41
	v_fmac_f32_e32 v18, 0xbeb58ec6, v16
	v_sub_f32_e32 v11, v11, v13
	v_fmac_f32_e32 v41, 0xbf3f9e67, v16
	v_add_f32_e32 v12, v12, v14
	v_add_f32_e32 v34, v34, v36
	v_fma_f32 v36, 0x3f62ad3f, v16, -v38
	v_add_f32_e32 v18, v18, v33
	v_mul_f32_e32 v33, 0xbf7e222b, v15
	v_mul_f32_e32 v14, 0xbf29c268, v11
	v_add_f32_e32 v40, v41, v49
	v_add_f32_e32 v36, v36, v37
	v_mul_f32_e32 v37, 0x3e750f2a, v15
	v_mul_f32_e32 v15, 0x3f52af12, v15
	v_fmac_f32_e32 v38, 0x3f62ad3f, v16
	v_fma_f32 v41, 0x3df6dbef, v16, -v33
	v_fmac_f32_e32 v33, 0x3df6dbef, v16
	v_fma_f32 v13, 0xbf788fa5, v16, -v37
	v_fmac_f32_e32 v37, 0xbf788fa5, v16
	v_add_f32_e32 v51, v56, v51
	v_sub_f32_e32 v9, v7, v9
	v_mul_f32_e32 v7, 0xbf6f5d39, v11
	v_add_f32_e32 v13, v13, v17
	v_fma_f32 v17, 0x3f116cb1, v16, -v15
	v_fmac_f32_e32 v15, 0x3f116cb1, v16
	v_fma_f32 v16, 0xbf3f9e67, v12, -v14
	v_add_f32_e32 v26, v37, v26
	v_mul_f32_e32 v37, 0x3f7e222b, v11
	v_fmac_f32_e32 v14, 0xbf3f9e67, v12
	v_add_f32_e32 v39, v39, v51
	v_add_f32_e32 v16, v16, v31
	v_mul_f32_e32 v31, 0xbf52af12, v11
	v_add_f32_e32 v17, v17, v32
	v_add_f32_e32 v15, v15, v25
	v_fma_f32 v25, 0x3df6dbef, v12, -v37
	v_add_f32_e32 v14, v14, v18
	v_fmac_f32_e32 v37, 0x3df6dbef, v12
	v_mul_f32_e32 v18, 0x3e750f2a, v11
	v_fma_f32 v32, 0x3f116cb1, v12, -v31
	v_add_f32_e32 v33, v33, v39
	v_add_f32_e32 v25, v25, v34
	;; [unrolled: 1-line block ×3, first 2 shown]
	v_fma_f32 v37, 0xbf788fa5, v12, -v18
	v_fmac_f32_e32 v18, 0xbf788fa5, v12
	v_add_f32_e32 v32, v32, v36
	v_mul_f32_e32 v36, 0x3eedf032, v11
	v_add_f32_e32 v8, v8, v10
	v_mul_f32_e32 v10, 0xbe750f2a, v9
	v_add_f32_e32 v53, v53, v60
	v_fmac_f32_e32 v31, 0x3f116cb1, v12
	v_add_f32_e32 v18, v18, v33
	v_fma_f32 v11, 0x3f62ad3f, v12, -v36
	v_fmac_f32_e32 v36, 0x3f62ad3f, v12
	v_fma_f32 v33, 0xbeb58ec6, v12, -v7
	v_fmac_f32_e32 v7, 0xbeb58ec6, v12
	v_fma_f32 v12, 0xbf788fa5, v8, -v10
	v_add_f32_e32 v50, v52, v50
	v_add_f32_e32 v52, v54, v53
	;; [unrolled: 1-line block ×4, first 2 shown]
	v_mul_f32_e32 v26, 0x3eedf032, v9
	v_fmac_f32_e32 v10, 0xbf788fa5, v8
	v_add_f32_e32 v12, v12, v16
	v_mul_f32_e32 v16, 0xbf29c268, v9
	v_add_f32_e32 v38, v38, v50
	v_add_f32_e32 v41, v41, v52
	;; [unrolled: 1-line block ×4, first 2 shown]
	v_fma_f32 v33, 0x3f62ad3f, v8, -v26
	v_add_f32_e32 v7, v10, v14
	v_mul_f32_e32 v10, 0x3f52af12, v9
	v_fma_f32 v14, 0xbf3f9e67, v8, -v16
	v_add_f32_e32 v31, v31, v38
	v_add_f32_e32 v37, v37, v41
	;; [unrolled: 1-line block ×3, first 2 shown]
	v_fmac_f32_e32 v16, 0xbf3f9e67, v8
	v_fma_f32 v33, 0x3f116cb1, v8, -v10
	v_add_f32_e32 v14, v14, v32
	v_mul_f32_e32 v32, 0xbf6f5d39, v9
	v_fmac_f32_e32 v26, 0x3f62ad3f, v8
	v_mul_f32_e32 v9, 0x3f7e222b, v9
	v_add_f32_e32 v16, v16, v31
	v_add_f32_e32 v31, v33, v37
	v_fmac_f32_e32 v10, 0x3f116cb1, v8
	v_fma_f32 v33, 0xbeb58ec6, v8, -v32
	v_add_f32_e32 v26, v26, v34
	v_fmac_f32_e32 v32, 0xbeb58ec6, v8
	v_fma_f32 v34, 0x3df6dbef, v8, -v9
	v_fmac_f32_e32 v9, 0x3df6dbef, v8
	v_add_f32_e32 v8, v10, v18
	v_add_f32_e32 v10, v33, v11
	;; [unrolled: 1-line block ×5, first 2 shown]
	s_waitcnt lgkmcnt(0)
	s_barrier
	buffer_gl0_inv
	ds_write2_b32 v42, v35, v12 offset1:1
	ds_write2_b32 v42, v25, v14 offset0:2 offset1:3
	ds_write2_b32 v42, v31, v10 offset0:4 offset1:5
	;; [unrolled: 1-line block ×5, first 2 shown]
	ds_write_b32 v42, v7 offset:48
	s_waitcnt lgkmcnt(0)
	s_barrier
	buffer_gl0_inv
	ds_read2_b32 v[9:10], v44 offset0:130 offset1:169
	ds_read2_b32 v[11:12], v44 offset0:26 offset1:52
	;; [unrolled: 1-line block ×5, first 2 shown]
	ds_read_b32 v48, v45
	ds_read_b32 v49, v44 offset:1196
	s_and_saveexec_b32 s1, s0
	s_cbranch_execz .LBB0_15
; %bb.14:
	v_add_nc_u32_e32 v7, 0x200, v44
	ds_read2_b32 v[7:8], v7 offset0:28 offset1:197
.LBB0_15:
	s_or_b32 exec_lo, exec_lo, s1
	v_add_nc_u16 v31, v4, 26
	v_add_nc_u32_e32 v25, -13, v4
	v_add_nc_u16 v32, v4, 52
	v_add_nc_u16 v33, v4, 0x4e
	;; [unrolled: 1-line block ×3, first 2 shown]
	v_and_b32_e32 v26, 0xff, v31
	v_cndmask_b32_e64 v51, v25, v4, s0
	v_and_b32_e32 v25, 0xff, v32
	v_mov_b32_e32 v52, 0
	v_add_nc_u16 v35, v4, 0x82
	v_mul_lo_u16 v26, 0x4f, v26
	v_and_b32_e32 v36, 0xff, v33
	v_mul_lo_u16 v39, 0x4f, v25
	v_and_b32_e32 v37, 0xff, v34
	v_and_b32_e32 v38, 0xff, v35
	v_lshrrev_b16 v53, 10, v26
	v_lshlrev_b64 v[25:26], 3, v[51:52]
	v_mul_lo_u16 v36, 0x4f, v36
	v_lshrrev_b16 v52, 10, v39
	v_mul_lo_u16 v37, 0x4f, v37
	v_mul_lo_u16 v39, v53, 13
	v_mov_b32_e32 v55, 3
	v_lshrrev_b16 v56, 10, v36
	v_add_co_u32 v25, s1, s8, v25
	v_sub_nc_u16 v54, v31, v39
	v_mul_lo_u16 v31, 0x4f, v38
	v_add_co_ci_u32_e64 v26, s1, s9, v26, s1
	v_lshrrev_b16 v58, 10, v37
	v_mul_lo_u16 v36, v52, 13
	v_lshrrev_b16 v59, 10, v31
	v_mul_lo_u16 v37, v56, 13
	global_load_dwordx2 v[41:42], v[25:26], off
	v_mul_lo_u16 v38, v58, 13
	v_add_nc_u16 v25, v4, 0x9c
	v_sub_nc_u16 v60, v32, v36
	v_mul_lo_u16 v32, v59, 13
	v_sub_nc_u16 v61, v33, v37
	v_lshlrev_b32_sdwa v31, v55, v54 dst_sel:DWORD dst_unused:UNUSED_PAD src0_sel:DWORD src1_sel:BYTE_0
	v_sub_nc_u16 v62, v34, v38
	v_and_b32_e32 v38, 0xff, v25
	v_lshlrev_b32_sdwa v26, v55, v60 dst_sel:DWORD dst_unused:UNUSED_PAD src0_sel:DWORD src1_sel:BYTE_0
	v_sub_nc_u16 v63, v35, v32
	v_lshlrev_b32_sdwa v32, v55, v61 dst_sel:DWORD dst_unused:UNUSED_PAD src0_sel:DWORD src1_sel:BYTE_0
	s_clause 0x2
	global_load_dwordx2 v[33:34], v31, s[8:9]
	global_load_dwordx2 v[35:36], v26, s[8:9]
	global_load_dwordx2 v[31:32], v32, s[8:9]
	v_mul_lo_u16 v26, 0x4f, v38
	v_lshlrev_b32_sdwa v37, v55, v62 dst_sel:DWORD dst_unused:UNUSED_PAD src0_sel:DWORD src1_sel:BYTE_0
	v_lshlrev_b32_sdwa v39, v55, v63 dst_sel:DWORD dst_unused:UNUSED_PAD src0_sel:DWORD src1_sel:BYTE_0
	s_clause 0x1
	global_load_dwordx2 v[37:38], v37, s[8:9]
	global_load_dwordx2 v[39:40], v39, s[8:9]
	v_lshrrev_b16 v26, 10, v26
	v_cmp_lt_u32_e64 s1, 12, v4
	v_lshlrev_b32_e32 v43, 2, v43
	v_lshlrev_b32_e32 v51, 2, v51
	v_mov_b32_e32 v57, 2
	v_mul_lo_u16 v26, v26, 13
	v_and_b32_e32 v52, 0xffff, v52
	v_and_b32_e32 v53, 0xffff, v53
	v_sub_nc_u16 v50, v25, v26
	v_mad_u32_u24 v53, 0x68, v53, 0
	v_lshlrev_b32_sdwa v25, v55, v50 dst_sel:DWORD dst_unused:UNUSED_PAD src0_sel:DWORD src1_sel:BYTE_0
	v_cndmask_b32_e64 v55, 0, 0x68, s1
	global_load_dwordx2 v[25:26], v25, s[8:9]
	v_add_nc_u32_e32 v55, 0, v55
	s_waitcnt vmcnt(0) lgkmcnt(0)
	s_barrier
	buffer_gl0_inv
	v_add3_u32 v51, v55, v51, v43
	v_and_b32_e32 v55, 0xffff, v56
	v_and_b32_e32 v56, 0xffff, v58
	;; [unrolled: 1-line block ×3, first 2 shown]
	v_mad_u32_u24 v59, 0x68, v52, 0
	v_lshlrev_b32_sdwa v52, v57, v54 dst_sel:DWORD dst_unused:UNUSED_PAD src0_sel:DWORD src1_sel:BYTE_0
	v_lshlrev_b32_sdwa v54, v57, v60 dst_sel:DWORD dst_unused:UNUSED_PAD src0_sel:DWORD src1_sel:BYTE_0
	;; [unrolled: 1-line block ×5, first 2 shown]
	v_mad_u32_u24 v55, 0x68, v55, 0
	v_mad_u32_u24 v56, 0x68, v56, 0
	v_mad_u32_u24 v58, 0x68, v58, 0
	v_add3_u32 v52, v53, v52, v43
	v_add3_u32 v53, v59, v54, v43
	;; [unrolled: 1-line block ×5, first 2 shown]
	v_mul_f32_e32 v63, v10, v42
	v_fmac_f32_e32 v63, v24, v41
	v_sub_f32_e32 v58, v47, v63
	v_mul_f32_e32 v59, v17, v34
	v_mul_f32_e32 v60, v18, v36
	;; [unrolled: 1-line block ×3, first 2 shown]
	v_fma_f32 v47, v47, 2.0, -v58
	v_fmac_f32_e32 v59, v21, v33
	v_fmac_f32_e32 v60, v22, v35
	;; [unrolled: 1-line block ×3, first 2 shown]
	v_mul_f32_e32 v62, v16, v38
	v_mul_f32_e32 v63, v49, v40
	ds_write2_b32 v51, v47, v58 offset1:13
	v_sub_f32_e32 v47, v27, v59
	v_sub_f32_e32 v58, v28, v60
	v_fmac_f32_e32 v62, v20, v37
	v_fmac_f32_e32 v63, v46, v39
	v_sub_f32_e32 v59, v29, v61
	v_fma_f32 v27, v27, 2.0, -v47
	v_fma_f32 v28, v28, 2.0, -v58
	v_sub_f32_e32 v60, v30, v62
	v_sub_f32_e32 v61, v23, v63
	v_fma_f32 v29, v29, 2.0, -v59
	v_fma_f32 v30, v30, 2.0, -v60
	;; [unrolled: 1-line block ×3, first 2 shown]
	ds_write2_b32 v52, v27, v47 offset1:13
	ds_write2_b32 v53, v28, v58 offset1:13
	;; [unrolled: 1-line block ×5, first 2 shown]
	s_and_saveexec_b32 s1, s0
	s_cbranch_execz .LBB0_17
; %bb.16:
	v_mul_f32_e32 v23, v8, v26
	v_lshlrev_b32_sdwa v27, v57, v50 dst_sel:DWORD dst_unused:UNUSED_PAD src0_sel:DWORD src1_sel:BYTE_0
	v_fmac_f32_e32 v23, v6, v25
	v_add3_u32 v27, 0, v27, v43
	v_sub_f32_e32 v23, v5, v23
	v_add_nc_u32_e32 v27, 0x400, v27
	v_fma_f32 v5, v5, 2.0, -v23
	ds_write2_b32 v27, v5, v23 offset0:56 offset1:69
.LBB0_17:
	s_or_b32 exec_lo, exec_lo, s1
	v_mul_f32_e32 v5, v24, v42
	v_lshlrev_b32_e32 v23, 2, v4
	v_mul_f32_e32 v21, v21, v34
	v_mul_f32_e32 v22, v22, v36
	;; [unrolled: 1-line block ×3, first 2 shown]
	v_fma_f32 v5, v10, v41, -v5
	v_add3_u32 v27, 0, v23, v43
	v_mul_f32_e32 v20, v20, v38
	v_mul_f32_e32 v10, v46, v40
	v_fma_f32 v29, v17, v33, -v21
	v_sub_f32_e32 v32, v48, v5
	v_add_nc_u32_e32 v5, 0x400, v27
	v_fma_f32 v30, v18, v35, -v22
	v_fma_f32 v31, v15, v31, -v19
	;; [unrolled: 1-line block ×4, first 2 shown]
	s_waitcnt lgkmcnt(0)
	s_barrier
	buffer_gl0_inv
	ds_read2_b32 v[21:22], v44 offset0:26 offset1:52
	ds_read2_b32 v[19:20], v44 offset0:78 offset1:104
	;; [unrolled: 1-line block ×5, first 2 shown]
	ds_read_b32 v5, v45
	ds_read_b32 v10, v44 offset:520
	ds_read_b32 v28, v27 offset:1248
	v_sub_f32_e32 v29, v11, v29
	v_sub_f32_e32 v30, v12, v30
	;; [unrolled: 1-line block ×4, first 2 shown]
	v_fma_f32 v35, v48, 2.0, -v32
	v_sub_f32_e32 v34, v9, v34
	v_fma_f32 v11, v11, 2.0, -v29
	v_fma_f32 v12, v12, 2.0, -v30
	;; [unrolled: 1-line block ×5, first 2 shown]
	s_waitcnt lgkmcnt(0)
	s_barrier
	buffer_gl0_inv
	ds_write2_b32 v51, v35, v32 offset1:13
	ds_write2_b32 v52, v11, v29 offset1:13
	;; [unrolled: 1-line block ×6, first 2 shown]
	s_and_saveexec_b32 s1, s0
	s_cbranch_execz .LBB0_19
; %bb.18:
	v_mul_f32_e32 v6, v6, v26
	v_mov_b32_e32 v9, 2
	v_fma_f32 v6, v8, v25, -v6
	v_lshlrev_b32_sdwa v8, v9, v50 dst_sel:DWORD dst_unused:UNUSED_PAD src0_sel:DWORD src1_sel:BYTE_0
	v_sub_f32_e32 v6, v7, v6
	v_add3_u32 v8, 0, v8, v43
	v_fma_f32 v7, v7, 2.0, -v6
	v_add_nc_u32_e32 v8, 0x400, v8
	ds_write2_b32 v8, v7, v6 offset0:56 offset1:69
.LBB0_19:
	s_or_b32 exec_lo, exec_lo, s1
	s_waitcnt lgkmcnt(0)
	s_barrier
	buffer_gl0_inv
	s_and_saveexec_b32 s0, vcc_lo
	s_cbranch_execz .LBB0_21
; %bb.20:
	v_mul_u32_u24_e32 v4, 12, v4
	v_add_nc_u32_e32 v6, 0x400, v27
	v_lshlrev_b64 v[2:3], 3, v[2:3]
	v_add_co_u32 v0, vcc_lo, s2, v0
	v_lshlrev_b32_e32 v4, 3, v4
	v_add_co_ci_u32_e32 v1, vcc_lo, s3, v1, vcc_lo
	v_add_co_u32 v0, vcc_lo, v0, v2
	s_clause 0x5
	global_load_dwordx4 v[11:14], v4, s[8:9] offset:104
	global_load_dwordx4 v[33:36], v4, s[8:9] offset:184
	global_load_dwordx4 v[54:57], v4, s[8:9] offset:120
	global_load_dwordx4 v[58:61], v4, s[8:9] offset:168
	global_load_dwordx4 v[62:65], v4, s[8:9] offset:136
	global_load_dwordx4 v[66:69], v4, s[8:9] offset:152
	ds_read2_b32 v[8:9], v44 offset0:26 offset1:52
	ds_read_b32 v4, v45
	ds_read2_b32 v[39:40], v44 offset0:78 offset1:104
	ds_read2_b32 v[46:47], v27 offset0:208 offset1:234
	ds_read_b32 v29, v27 offset:1248
	ds_read_b32 v31, v44 offset:520
	ds_read2_b32 v[49:50], v27 offset0:156 offset1:182
	ds_read2_b32 v[25:26], v6 offset0:4 offset1:30
	v_add_co_ci_u32_e32 v1, vcc_lo, v1, v3, vcc_lo
	s_waitcnt vmcnt(5)
	v_mul_f32_e32 v52, v21, v11
	s_waitcnt vmcnt(4)
	v_mul_f32_e32 v7, v28, v35
	v_mul_f32_e32 v6, v28, v36
	;; [unrolled: 1-line block ×7, first 2 shown]
	s_waitcnt vmcnt(3)
	v_mul_f32_e32 v43, v19, v54
	s_waitcnt vmcnt(2)
	v_mul_f32_e32 v22, v23, v60
	v_mul_f32_e32 v41, v23, v61
	;; [unrolled: 1-line block ×5, first 2 shown]
	s_waitcnt vmcnt(1)
	v_mul_f32_e32 v32, v15, v64
	v_mul_f32_e32 v15, v15, v65
	s_waitcnt lgkmcnt(7)
	v_fmac_f32_e32 v52, v8, v12
	s_waitcnt lgkmcnt(3)
	v_fmac_f32_e32 v7, v29, v36
	v_fma_f32 v19, v29, v35, -v6
	v_fma_f32 v53, v8, v11, -v27
	v_mul_f32_e32 v42, v20, v56
	v_mul_f32_e32 v70, v20, v57
	;; [unrolled: 1-line block ×3, first 2 shown]
	s_waitcnt vmcnt(0)
	v_mul_f32_e32 v24, v17, v68
	v_mul_f32_e32 v17, v17, v69
	;; [unrolled: 1-line block ×5, first 2 shown]
	v_fmac_f32_e32 v48, v9, v14
	s_waitcnt lgkmcnt(0)
	v_fmac_f32_e32 v21, v26, v34
	v_fma_f32 v20, v26, v33, -v28
	v_fma_f32 v51, v9, v13, -v37
	v_fmac_f32_e32 v23, v47, v59
	v_fma_f32 v26, v47, v58, -v18
	v_fmac_f32_e32 v32, v49, v65
	v_fma_f32 v33, v49, v64, -v15
	v_sub_f32_e32 v18, v52, v7
	v_add_f32_e32 v47, v53, v19
	v_sub_f32_e32 v49, v53, v19
	v_add_f32_e32 v53, v53, v4
	v_fmac_f32_e32 v22, v25, v61
	v_fma_f32 v25, v25, v60, -v41
	v_fma_f32 v45, v39, v54, -v44
	v_fmac_f32_e32 v42, v40, v57
	v_fma_f32 v44, v40, v56, -v70
	v_fmac_f32_e32 v38, v31, v63
	v_fmac_f32_e32 v24, v46, v69
	v_fma_f32 v27, v46, v68, -v17
	v_fma_f32 v40, v31, v62, -v10
	v_fmac_f32_e32 v30, v50, v67
	v_fma_f32 v31, v50, v66, -v16
	v_sub_f32_e32 v11, v48, v21
	v_add_f32_e32 v46, v51, v20
	v_add_f32_e32 v17, v52, v7
	v_sub_f32_e32 v50, v51, v20
	v_add_f32_e32 v52, v5, v52
	v_mul_f32_e32 v54, 0xbeedf032, v18
	v_mul_f32_e32 v66, 0xbf7e222b, v18
	v_add_f32_e32 v51, v53, v51
	v_fmac_f32_e32 v43, v39, v55
	v_add_f32_e32 v39, v45, v25
	v_add_f32_e32 v16, v48, v21
	v_sub_f32_e32 v41, v45, v25
	v_mul_f32_e32 v55, 0xbf52af12, v11
	v_mul_f32_e32 v60, 0xbeedf032, v49
	;; [unrolled: 1-line block ×5, first 2 shown]
	v_add_f32_e32 v48, v52, v48
	v_fmamk_f32 v104, v47, 0x3f62ad3f, v54
	v_fmamk_f32 v107, v47, 0x3df6dbef, v66
	v_add_f32_e32 v45, v51, v45
	v_sub_f32_e32 v10, v43, v22
	v_add_f32_e32 v34, v44, v26
	v_add_f32_e32 v15, v43, v22
	v_sub_f32_e32 v37, v44, v26
	v_mul_f32_e32 v61, 0xbf52af12, v50
	v_mul_f32_e32 v69, 0xbe750f2a, v50
	;; [unrolled: 1-line block ×5, first 2 shown]
	v_fma_f32 v105, 0x3f62ad3f, v17, -v60
	v_fmamk_f32 v106, v46, 0x3f116cb1, v55
	v_fmamk_f32 v51, v46, 0xbf788fa5, v67
	v_add_f32_e32 v43, v48, v43
	v_fmamk_f32 v48, v47, 0xbf3f9e67, v78
	v_add_f32_e32 v104, v4, v104
	v_add_f32_e32 v44, v45, v44
	v_fma_f32 v45, 0x3df6dbef, v17, -v68
	v_add_f32_e32 v107, v4, v107
	v_fmac_f32_e32 v60, 0x3f62ad3f, v17
	v_sub_f32_e32 v9, v42, v23
	v_add_f32_e32 v14, v42, v23
	v_mul_f32_e32 v56, 0xbf7e222b, v10
	v_mul_f32_e32 v81, 0x3f7e222b, v50
	;; [unrolled: 1-line block ×8, first 2 shown]
	v_fma_f32 v78, 0xbf3f9e67, v47, -v78
	v_fma_f32 v66, 0x3df6dbef, v47, -v66
	;; [unrolled: 1-line block ×3, first 2 shown]
	v_fmamk_f32 v54, v46, 0x3df6dbef, v79
	v_fma_f32 v79, 0x3df6dbef, v46, -v79
	v_fma_f32 v67, 0xbf788fa5, v46, -v67
	;; [unrolled: 1-line block ×4, first 2 shown]
	v_add_f32_e32 v105, v5, v105
	v_add_f32_e32 v42, v43, v42
	v_fma_f32 v43, 0xbf788fa5, v16, -v69
	v_add_f32_e32 v104, v104, v106
	v_fma_f32 v106, 0xbf3f9e67, v17, -v80
	v_add_f32_e32 v45, v5, v45
	v_add_f32_e32 v48, v4, v48
	;; [unrolled: 1-line block ×3, first 2 shown]
	v_fmamk_f32 v107, v18, 0x3e750f2a, v90
	v_fmac_f32_e32 v61, 0x3f116cb1, v16
	v_add_f32_e32 v60, v5, v60
	v_mul_f32_e32 v62, 0xbf7e222b, v41
	v_mul_f32_e32 v71, 0x3f6f5d39, v41
	;; [unrolled: 1-line block ×3, first 2 shown]
	v_add_f32_e32 v55, v105, v55
	v_fma_f32 v105, 0x3df6dbef, v16, -v81
	v_add_f32_e32 v106, v5, v106
	v_add_f32_e32 v43, v45, v43
	v_fmamk_f32 v45, v11, 0xbeedf032, v91
	v_add_f32_e32 v48, v48, v54
	v_fmamk_f32 v54, v17, 0xbf788fa5, v92
	v_add_f32_e32 v107, v4, v107
	v_add_f32_e32 v60, v60, v61
	v_fmamk_f32 v61, v39, 0x3df6dbef, v56
	v_add_f32_e32 v29, v40, v27
	v_sub_f32_e32 v35, v40, v27
	v_mul_f32_e32 v70, 0x3f6f5d39, v10
	v_mul_f32_e32 v82, 0xbf52af12, v10
	;; [unrolled: 1-line block ×5, first 2 shown]
	v_add_f32_e32 v105, v106, v105
	v_fmamk_f32 v106, v16, 0x3f62ad3f, v93
	v_fmac_f32_e32 v80, 0xbf3f9e67, v17
	v_add_f32_e32 v54, v5, v54
	v_add_f32_e32 v78, v4, v78
	;; [unrolled: 1-line block ×3, first 2 shown]
	v_fmamk_f32 v107, v18, 0x3f6f5d39, v52
	v_fmac_f32_e32 v68, 0x3df6dbef, v17
	v_add_f32_e32 v66, v4, v66
	v_add_f32_e32 v40, v44, v40
	v_fma_f32 v44, 0x3df6dbef, v15, -v62
	v_add_f32_e32 v61, v104, v61
	v_fma_f32 v104, 0xbeb58ec6, v15, -v71
	v_sub_f32_e32 v8, v38, v24
	v_add_f32_e32 v13, v38, v24
	v_mul_f32_e32 v73, 0x3eedf032, v37
	v_mul_f32_e32 v94, 0xbf3f9e67, v39
	;; [unrolled: 1-line block ×5, first 2 shown]
	v_fmac_f32_e32 v81, 0x3df6dbef, v16
	v_add_f32_e32 v80, v5, v80
	v_add_f32_e32 v54, v54, v106
	v_fmamk_f32 v106, v11, 0xbf29c268, v53
	v_add_f32_e32 v78, v78, v79
	v_fmamk_f32 v79, v17, 0xbeb58ec6, v100
	v_add_f32_e32 v107, v4, v107
	v_fmac_f32_e32 v69, 0xbf788fa5, v16
	v_add_f32_e32 v68, v5, v68
	v_add_f32_e32 v66, v66, v67
	v_fmamk_f32 v67, v17, 0x3f116cb1, v49
	v_add_f32_e32 v47, v4, v47
	v_add_f32_e32 v38, v42, v38
	v_fmamk_f32 v42, v39, 0xbeb58ec6, v70
	v_add_f32_e32 v44, v55, v44
	v_fmamk_f32 v55, v39, 0x3f116cb1, v82
	v_add_f32_e32 v43, v43, v104
	v_fma_f32 v104, 0x3f116cb1, v15, -v83
	v_sub_f32_e32 v6, v32, v30
	v_add_f32_e32 v12, v32, v30
	v_sub_f32_e32 v36, v33, v31
	v_mul_f32_e32 v85, 0x3e750f2a, v37
	v_mul_f32_e32 v96, 0x3f116cb1, v34
	;; [unrolled: 1-line block ×3, first 2 shown]
	v_add_f32_e32 v80, v80, v81
	v_fmamk_f32 v81, v16, 0xbf3f9e67, v101
	v_add_f32_e32 v79, v5, v79
	v_add_f32_e32 v106, v107, v106
	v_fmamk_f32 v107, v18, 0x3f52af12, v102
	v_add_f32_e32 v68, v68, v69
	v_fmamk_f32 v69, v16, 0xbeb58ec6, v50
	v_add_f32_e32 v67, v5, v67
	v_add_f32_e32 v46, v47, v46
	v_mul_f32_e32 v47, 0x3f62ad3f, v39
	v_add_f32_e32 v42, v51, v42
	v_mul_f32_e32 v51, 0x3eedf032, v41
	v_add_f32_e32 v48, v48, v55
	v_fmamk_f32 v55, v10, 0x3f29c268, v94
	v_fma_f32 v82, 0x3f116cb1, v39, -v82
	v_fma_f32 v70, 0xbeb58ec6, v39, -v70
	v_fma_f32 v56, 0x3df6dbef, v39, -v56
	v_mul_f32_e32 v108, 0xbf788fa5, v39
	v_add_f32_e32 v39, v105, v104
	v_fmamk_f32 v104, v15, 0xbf3f9e67, v95
	v_fmac_f32_e32 v83, 0x3f116cb1, v15
	v_add_f32_e32 v32, v38, v32
	v_fma_f32 v38, 0x3f62ad3f, v14, -v73
	v_add_f32_e32 v28, v33, v31
	v_mul_f32_e32 v65, 0xbe750f2a, v36
	v_mul_f32_e32 v77, 0xbf29c268, v36
	;; [unrolled: 1-line block ×3, first 2 shown]
	v_add_f32_e32 v79, v79, v81
	v_fmamk_f32 v81, v11, 0x3f6f5d39, v103
	v_add_f32_e32 v107, v4, v107
	v_add_f32_e32 v67, v67, v69
	v_mul_f32_e32 v69, 0x3f7e222b, v36
	v_mul_f32_e32 v105, 0xbe750f2a, v41
	v_add_f32_e32 v41, v45, v55
	v_add_f32_e32 v45, v54, v104
	v_fmamk_f32 v54, v10, 0xbeedf032, v47
	v_add_f32_e32 v78, v78, v82
	v_fmamk_f32 v82, v15, 0x3f62ad3f, v51
	v_add_f32_e32 v80, v80, v83
	v_mul_f32_e32 v83, 0xbf7e222b, v37
	v_add_f32_e32 v33, v40, v33
	v_mul_f32_e32 v110, 0x3f52af12, v36
	v_mul_f32_e32 v111, 0x3eedf032, v36
	v_fma_f32 v36, 0xbf788fa5, v14, -v85
	v_add_f32_e32 v38, v43, v38
	v_fmamk_f32 v40, v9, 0xbf52af12, v96
	v_fmamk_f32 v43, v14, 0x3f116cb1, v97
	v_mul_f32_e32 v57, 0xbf6f5d39, v9
	v_mul_f32_e32 v72, 0x3eedf032, v9
	v_add_f32_e32 v81, v107, v81
	v_add_f32_e32 v54, v106, v54
	v_fmac_f32_e32 v71, 0xbeb58ec6, v15
	v_add_f32_e32 v79, v79, v82
	v_fmamk_f32 v82, v10, 0x3e750f2a, v108
	v_mul_f32_e32 v106, 0xbf3f9e67, v34
	v_add_f32_e32 v36, v39, v36
	v_add_f32_e32 v39, v41, v40
	;; [unrolled: 1-line block ×3, first 2 shown]
	v_fmamk_f32 v45, v14, 0x3df6dbef, v83
	v_add_f32_e32 v68, v68, v71
	v_fmamk_f32 v71, v34, 0xbeb58ec6, v57
	v_add_f32_e32 v81, v81, v82
	;; [unrolled: 2-line block ×3, first 2 shown]
	v_fmamk_f32 v79, v9, 0xbf29c268, v106
	v_mul_f32_e32 v63, 0xbf6f5d39, v37
	v_mul_f32_e32 v64, 0xbf29c268, v35
	;; [unrolled: 1-line block ×5, first 2 shown]
	v_add_f32_e32 v46, v46, v56
	v_mul_f32_e32 v56, 0x3e750f2a, v35
	v_mul_f32_e32 v109, 0x3f29c268, v37
	v_add_f32_e32 v37, v61, v71
	v_mul_f32_e32 v71, 0x3f7e222b, v35
	v_add_f32_e32 v35, v42, v82
	v_add_f32_e32 v79, v81, v79
	;; [unrolled: 1-line block ×4, first 2 shown]
	v_mul_f32_e32 v58, 0xbf29c268, v8
	v_mul_f32_e32 v55, 0x3df6dbef, v34
	v_fmac_f32_e32 v90, 0xbe750f2a, v18
	v_add_f32_e32 v27, v27, v81
	v_add_f32_e32 v24, v24, v82
	v_mul_f32_e32 v59, 0xbe750f2a, v6
	v_mul_f32_e32 v84, 0x3e750f2a, v9
	v_add_f32_e32 v66, v66, v70
	v_add_f32_e32 v26, v26, v27
	;; [unrolled: 1-line block ×3, first 2 shown]
	v_fmamk_f32 v70, v15, 0xbf788fa5, v105
	v_fmac_f32_e32 v62, 0x3df6dbef, v15
	v_fma_f32 v72, 0x3f62ad3f, v34, -v72
	v_add_f32_e32 v25, v25, v26
	v_add_f32_e32 v24, v22, v24
	v_fmamk_f32 v40, v29, 0xbf3f9e67, v58
	v_fmamk_f32 v43, v9, 0x3f7e222b, v55
	v_fmac_f32_e32 v91, 0x3eedf032, v11
	v_add_f32_e32 v20, v20, v25
	v_add_f32_e32 v21, v21, v24
	;; [unrolled: 1-line block ×4, first 2 shown]
	v_fmamk_f32 v70, v34, 0xbf788fa5, v84
	v_fma_f32 v84, 0xbf788fa5, v34, -v84
	v_fma_f32 v57, 0xbeb58ec6, v34, -v57
	v_add_f32_e32 v60, v60, v62
	v_fma_f32 v34, 0xbeb58ec6, v14, -v63
	v_add_f32_e32 v43, v54, v43
	v_fmamk_f32 v54, v28, 0xbf788fa5, v59
	v_add_f32_e32 v66, v66, v72
	v_fmamk_f32 v72, v14, 0xbf3f9e67, v109
	v_add_f32_e32 v31, v37, v40
	v_fmac_f32_e32 v63, 0xbeb58ec6, v14
	v_add_f32_e32 v20, v19, v20
	v_add_f32_e32 v19, v24, v91
	v_fmac_f32_e32 v94, 0xbf29c268, v10
	v_mul_f32_e32 v98, 0xbeb58ec6, v29
	v_add_f32_e32 v34, v44, v34
	v_add_f32_e32 v44, v78, v84
	v_fma_f32 v78, 0xbf3f9e67, v13, -v64
	v_fmac_f32_e32 v73, 0x3f62ad3f, v14
	v_add_f32_e32 v67, v67, v72
	v_fma_f32 v72, 0x3f116cb1, v13, -v75
	v_add_f32_e32 v31, v31, v54
	v_add_f32_e32 v54, v60, v63
	v_fmac_f32_e32 v64, 0xbf3f9e67, v13
	v_add_f32_e32 v19, v19, v94
	v_fmac_f32_e32 v96, 0x3f52af12, v9
	v_add_f32_e32 v68, v68, v73
	v_fma_f32 v73, 0xbf788fa5, v12, -v65
	v_add_f32_e32 v38, v38, v72
	v_fmamk_f32 v72, v8, 0x3f6f5d39, v98
	v_add_f32_e32 v27, v54, v64
	v_fmac_f32_e32 v65, 0xbf788fa5, v12
	v_fma_f32 v26, 0xbf788fa5, v17, -v92
	v_add_f32_e32 v19, v19, v96
	v_fmac_f32_e32 v98, 0xbf6f5d39, v8
	v_mul_f32_e32 v86, 0x3eedf032, v8
	v_add_f32_e32 v22, v27, v65
	v_add_f32_e32 v25, v5, v26
	v_fma_f32 v26, 0x3f62ad3f, v16, -v93
	v_fmac_f32_e32 v52, 0xbf6f5d39, v18
	v_add_f32_e32 v27, v19, v98
	v_add_f32_e32 v19, v7, v21
	v_fma_f32 v7, 0xbeb58ec6, v17, -v100
	v_fmac_f32_e32 v102, 0xbf52af12, v18
	v_fma_f32 v17, 0x3f116cb1, v17, -v49
	v_add_f32_e32 v42, v48, v70
	v_fmamk_f32 v30, v29, 0x3f62ad3f, v86
	v_fma_f32 v32, 0x3f62ad3f, v13, -v87
	v_add_f32_e32 v24, v25, v26
	v_add_f32_e32 v26, v4, v52
	v_fmac_f32_e32 v53, 0x3f29c268, v11
	v_add_f32_e32 v7, v5, v7
	v_add_f32_e32 v4, v4, v102
	v_fmac_f32_e32 v103, 0xbf6f5d39, v11
	v_add_f32_e32 v5, v5, v17
	v_fma_f32 v11, 0xbeb58ec6, v16, -v50
	v_fma_f32 v18, 0xbf3f9e67, v16, -v101
	v_mul_f32_e32 v74, 0xbf52af12, v8
	v_fmac_f32_e32 v85, 0xbf788fa5, v14
	v_fma_f32 v25, 0xbf3f9e67, v15, -v95
	v_mul_f32_e32 v104, 0xbf788fa5, v29
	v_add_f32_e32 v42, v42, v30
	v_fmamk_f32 v30, v13, 0xbeb58ec6, v99
	v_add_f32_e32 v36, v36, v32
	v_fma_f32 v32, 0x3f62ad3f, v29, -v86
	v_fmac_f32_e32 v47, 0x3eedf032, v10
	v_add_f32_e32 v4, v4, v103
	v_fmac_f32_e32 v108, 0xbe750f2a, v10
	v_add_f32_e32 v5, v5, v11
	v_fma_f32 v10, 0xbf788fa5, v15, -v105
	v_add_f32_e32 v26, v26, v53
	v_add_f32_e32 v7, v7, v18
	v_fma_f32 v16, 0x3f62ad3f, v15, -v51
	v_mul_f32_e32 v76, 0xbf29c268, v6
	v_mul_f32_e32 v88, 0xbf6f5d39, v6
	;; [unrolled: 1-line block ×3, first 2 shown]
	v_add_f32_e32 v70, v80, v85
	v_fmamk_f32 v80, v29, 0x3f116cb1, v74
	v_fma_f32 v74, 0x3f116cb1, v29, -v74
	v_fma_f32 v29, 0xbf3f9e67, v29, -v58
	v_add_f32_e32 v46, v46, v57
	v_add_f32_e32 v24, v24, v25
	v_fma_f32 v25, 0x3f116cb1, v14, -v97
	v_add_f32_e32 v41, v41, v30
	v_add_f32_e32 v44, v44, v32
	v_fmamk_f32 v30, v8, 0xbe750f2a, v104
	v_fmamk_f32 v32, v13, 0xbf788fa5, v56
	v_fmac_f32_e32 v55, 0xbf7e222b, v9
	v_add_f32_e32 v4, v4, v108
	v_fmac_f32_e32 v106, 0x3f29c268, v9
	v_add_f32_e32 v5, v5, v10
	v_fma_f32 v9, 0xbf3f9e67, v14, -v109
	v_add_f32_e32 v26, v26, v47
	v_add_f32_e32 v7, v7, v16
	v_fma_f32 v11, 0x3df6dbef, v14, -v83
	v_mul_f32_e32 v107, 0x3df6dbef, v28
	v_mul_f32_e32 v62, 0x3f116cb1, v28
	;; [unrolled: 1-line block ×3, first 2 shown]
	v_fmamk_f32 v33, v28, 0xbf3f9e67, v76
	v_fmamk_f32 v40, v28, 0xbeb58ec6, v88
	v_fma_f32 v84, 0xbeb58ec6, v28, -v88
	v_add_f32_e32 v66, v66, v74
	v_fma_f32 v74, 0xbf3f9e67, v28, -v76
	v_fma_f32 v28, 0xbf788fa5, v28, -v59
	v_add_f32_e32 v29, v46, v29
	v_add_f32_e32 v24, v24, v25
	v_fma_f32 v25, 0xbeb58ec6, v13, -v99
	v_add_f32_e32 v43, v43, v30
	v_fmac_f32_e32 v75, 0x3f116cb1, v13
	v_add_f32_e32 v45, v45, v32
	v_fmamk_f32 v30, v8, 0xbf7e222b, v61
	v_fmamk_f32 v32, v13, 0x3df6dbef, v71
	v_fmac_f32_e32 v104, 0x3e750f2a, v8
	v_add_f32_e32 v4, v4, v106
	v_fmac_f32_e32 v61, 0x3f7e222b, v8
	v_add_f32_e32 v5, v5, v9
	v_fma_f32 v8, 0x3df6dbef, v13, -v71
	v_add_f32_e32 v26, v26, v55
	v_add_f32_e32 v7, v7, v11
	v_fma_f32 v10, 0xbf788fa5, v13, -v56
	v_add_f32_e32 v34, v34, v78
	v_fma_f32 v37, 0xbf3f9e67, v12, -v77
	;; [unrolled: 2-line block ×3, first 2 shown]
	v_add_f32_e32 v39, v39, v72
	v_fmamk_f32 v72, v6, 0xbf7e222b, v107
	v_fmamk_f32 v80, v12, 0x3df6dbef, v69
	v_fmac_f32_e32 v87, 0x3f62ad3f, v13
	v_add_f32_e32 v23, v29, v28
	v_fmac_f32_e32 v107, 0x3f7e222b, v6
	v_add_f32_e32 v24, v24, v25
	v_fma_f32 v28, 0x3df6dbef, v12, -v69
	v_fmamk_f32 v85, v6, 0xbf52af12, v62
	v_fmamk_f32 v86, v12, 0x3f116cb1, v110
	v_add_f32_e32 v68, v68, v75
	v_add_f32_e32 v75, v79, v30
	v_fmamk_f32 v76, v6, 0xbeedf032, v48
	v_add_f32_e32 v67, v67, v32
	v_fmamk_f32 v79, v12, 0x3f62ad3f, v111
	v_fmac_f32_e32 v62, 0x3f52af12, v6
	v_add_f32_e32 v4, v4, v61
	v_fmac_f32_e32 v48, 0x3eedf032, v6
	v_add_f32_e32 v6, v5, v8
	v_fma_f32 v8, 0x3f62ad3f, v12, -v111
	v_fmac_f32_e32 v77, 0xbf3f9e67, v12
	v_add_f32_e32 v21, v26, v104
	v_add_f32_e32 v7, v7, v10
	v_fma_f32 v9, 0x3f116cb1, v12, -v110
	v_fmac_f32_e32 v89, 0xbeb58ec6, v12
	v_add_f32_e32 v70, v70, v87
	v_add_f32_e32 v30, v34, v73
	;; [unrolled: 1-line block ×16, first 2 shown]
	v_add_co_u32 v6, vcc_lo, 0x800, v0
	v_add_f32_e32 v41, v43, v85
	v_add_f32_e32 v43, v66, v74
	;; [unrolled: 1-line block ×5, first 2 shown]
	v_add_co_ci_u32_e32 v7, vcc_lo, 0, v1, vcc_lo
	v_add_f32_e32 v38, v70, v89
	global_store_dwordx2 v[0:1], v[19:20], off
	global_store_dwordx2 v[0:1], v[22:23], off offset:208
	global_store_dwordx2 v[0:1], v[44:45], off offset:416
	;; [unrolled: 1-line block ×12, first 2 shown]
.LBB0_21:
	s_endpgm
	.section	.rodata,"a",@progbits
	.p2align	6, 0x0
	.amdhsa_kernel fft_rtc_back_len338_factors_13_2_13_wgs_52_tpt_26_halfLds_sp_ip_CI_unitstride_sbrr_dirReg
		.amdhsa_group_segment_fixed_size 0
		.amdhsa_private_segment_fixed_size 0
		.amdhsa_kernarg_size 88
		.amdhsa_user_sgpr_count 6
		.amdhsa_user_sgpr_private_segment_buffer 1
		.amdhsa_user_sgpr_dispatch_ptr 0
		.amdhsa_user_sgpr_queue_ptr 0
		.amdhsa_user_sgpr_kernarg_segment_ptr 1
		.amdhsa_user_sgpr_dispatch_id 0
		.amdhsa_user_sgpr_flat_scratch_init 0
		.amdhsa_user_sgpr_private_segment_size 0
		.amdhsa_wavefront_size32 1
		.amdhsa_uses_dynamic_stack 0
		.amdhsa_system_sgpr_private_segment_wavefront_offset 0
		.amdhsa_system_sgpr_workgroup_id_x 1
		.amdhsa_system_sgpr_workgroup_id_y 0
		.amdhsa_system_sgpr_workgroup_id_z 0
		.amdhsa_system_sgpr_workgroup_info 0
		.amdhsa_system_vgpr_workitem_id 0
		.amdhsa_next_free_vgpr 112
		.amdhsa_next_free_sgpr 21
		.amdhsa_reserve_vcc 1
		.amdhsa_reserve_flat_scratch 0
		.amdhsa_float_round_mode_32 0
		.amdhsa_float_round_mode_16_64 0
		.amdhsa_float_denorm_mode_32 3
		.amdhsa_float_denorm_mode_16_64 3
		.amdhsa_dx10_clamp 1
		.amdhsa_ieee_mode 1
		.amdhsa_fp16_overflow 0
		.amdhsa_workgroup_processor_mode 1
		.amdhsa_memory_ordered 1
		.amdhsa_forward_progress 0
		.amdhsa_shared_vgpr_count 0
		.amdhsa_exception_fp_ieee_invalid_op 0
		.amdhsa_exception_fp_denorm_src 0
		.amdhsa_exception_fp_ieee_div_zero 0
		.amdhsa_exception_fp_ieee_overflow 0
		.amdhsa_exception_fp_ieee_underflow 0
		.amdhsa_exception_fp_ieee_inexact 0
		.amdhsa_exception_int_div_zero 0
	.end_amdhsa_kernel
	.text
.Lfunc_end0:
	.size	fft_rtc_back_len338_factors_13_2_13_wgs_52_tpt_26_halfLds_sp_ip_CI_unitstride_sbrr_dirReg, .Lfunc_end0-fft_rtc_back_len338_factors_13_2_13_wgs_52_tpt_26_halfLds_sp_ip_CI_unitstride_sbrr_dirReg
                                        ; -- End function
	.section	.AMDGPU.csdata,"",@progbits
; Kernel info:
; codeLenInByte = 9176
; NumSgprs: 23
; NumVgprs: 112
; ScratchSize: 0
; MemoryBound: 0
; FloatMode: 240
; IeeeMode: 1
; LDSByteSize: 0 bytes/workgroup (compile time only)
; SGPRBlocks: 2
; VGPRBlocks: 13
; NumSGPRsForWavesPerEU: 23
; NumVGPRsForWavesPerEU: 112
; Occupancy: 9
; WaveLimiterHint : 1
; COMPUTE_PGM_RSRC2:SCRATCH_EN: 0
; COMPUTE_PGM_RSRC2:USER_SGPR: 6
; COMPUTE_PGM_RSRC2:TRAP_HANDLER: 0
; COMPUTE_PGM_RSRC2:TGID_X_EN: 1
; COMPUTE_PGM_RSRC2:TGID_Y_EN: 0
; COMPUTE_PGM_RSRC2:TGID_Z_EN: 0
; COMPUTE_PGM_RSRC2:TIDIG_COMP_CNT: 0
	.text
	.p2alignl 6, 3214868480
	.fill 48, 4, 3214868480
	.type	__hip_cuid_669982ac5ab279cb,@object ; @__hip_cuid_669982ac5ab279cb
	.section	.bss,"aw",@nobits
	.globl	__hip_cuid_669982ac5ab279cb
__hip_cuid_669982ac5ab279cb:
	.byte	0                               ; 0x0
	.size	__hip_cuid_669982ac5ab279cb, 1

	.ident	"AMD clang version 19.0.0git (https://github.com/RadeonOpenCompute/llvm-project roc-6.4.0 25133 c7fe45cf4b819c5991fe208aaa96edf142730f1d)"
	.section	".note.GNU-stack","",@progbits
	.addrsig
	.addrsig_sym __hip_cuid_669982ac5ab279cb
	.amdgpu_metadata
---
amdhsa.kernels:
  - .args:
      - .actual_access:  read_only
        .address_space:  global
        .offset:         0
        .size:           8
        .value_kind:     global_buffer
      - .offset:         8
        .size:           8
        .value_kind:     by_value
      - .actual_access:  read_only
        .address_space:  global
        .offset:         16
        .size:           8
        .value_kind:     global_buffer
      - .actual_access:  read_only
        .address_space:  global
        .offset:         24
        .size:           8
        .value_kind:     global_buffer
      - .offset:         32
        .size:           8
        .value_kind:     by_value
      - .actual_access:  read_only
        .address_space:  global
        .offset:         40
        .size:           8
        .value_kind:     global_buffer
      - .actual_access:  read_only
        .address_space:  global
        .offset:         48
        .size:           8
        .value_kind:     global_buffer
      - .offset:         56
        .size:           4
        .value_kind:     by_value
      - .actual_access:  read_only
        .address_space:  global
        .offset:         64
        .size:           8
        .value_kind:     global_buffer
      - .actual_access:  read_only
        .address_space:  global
        .offset:         72
        .size:           8
        .value_kind:     global_buffer
      - .address_space:  global
        .offset:         80
        .size:           8
        .value_kind:     global_buffer
    .group_segment_fixed_size: 0
    .kernarg_segment_align: 8
    .kernarg_segment_size: 88
    .language:       OpenCL C
    .language_version:
      - 2
      - 0
    .max_flat_workgroup_size: 52
    .name:           fft_rtc_back_len338_factors_13_2_13_wgs_52_tpt_26_halfLds_sp_ip_CI_unitstride_sbrr_dirReg
    .private_segment_fixed_size: 0
    .sgpr_count:     23
    .sgpr_spill_count: 0
    .symbol:         fft_rtc_back_len338_factors_13_2_13_wgs_52_tpt_26_halfLds_sp_ip_CI_unitstride_sbrr_dirReg.kd
    .uniform_work_group_size: 1
    .uses_dynamic_stack: false
    .vgpr_count:     112
    .vgpr_spill_count: 0
    .wavefront_size: 32
    .workgroup_processor_mode: 1
amdhsa.target:   amdgcn-amd-amdhsa--gfx1030
amdhsa.version:
  - 1
  - 2
...

	.end_amdgpu_metadata
